;; amdgpu-corpus repo=ROCm/rocFFT kind=compiled arch=gfx1030 opt=O3
	.text
	.amdgcn_target "amdgcn-amd-amdhsa--gfx1030"
	.amdhsa_code_object_version 6
	.protected	fft_rtc_back_len84_factors_7_2_6_wgs_336_tpt_14_sp_op_CI_CI_sbcc_twdbase6_3step_dirReg ; -- Begin function fft_rtc_back_len84_factors_7_2_6_wgs_336_tpt_14_sp_op_CI_CI_sbcc_twdbase6_3step_dirReg
	.globl	fft_rtc_back_len84_factors_7_2_6_wgs_336_tpt_14_sp_op_CI_CI_sbcc_twdbase6_3step_dirReg
	.p2align	8
	.type	fft_rtc_back_len84_factors_7_2_6_wgs_336_tpt_14_sp_op_CI_CI_sbcc_twdbase6_3step_dirReg,@function
fft_rtc_back_len84_factors_7_2_6_wgs_336_tpt_14_sp_op_CI_CI_sbcc_twdbase6_3step_dirReg: ; @fft_rtc_back_len84_factors_7_2_6_wgs_336_tpt_14_sp_op_CI_CI_sbcc_twdbase6_3step_dirReg
; %bb.0:
	s_clause 0x1
	s_load_dwordx8 s[8:15], s[4:5], 0x8
	s_load_dwordx2 s[30:31], s[4:5], 0x28
	s_mov_b32 s0, exec_lo
	v_cmpx_gt_u32_e32 0xc0, v0
	s_cbranch_execz .LBB0_2
; %bb.1:
	v_lshlrev_b32_e32 v3, 3, v0
	s_waitcnt lgkmcnt(0)
	global_load_dwordx2 v[1:2], v3, s[8:9]
	v_add_nc_u32_e32 v3, 0, v3
	s_waitcnt vmcnt(0)
	ds_write_b64 v3, v[1:2] offset:16128
.LBB0_2:
	s_or_b32 exec_lo, exec_lo, s0
	s_waitcnt lgkmcnt(0)
	s_load_dwordx2 s[28:29], s[12:13], 0x8
	s_waitcnt lgkmcnt(0)
	s_add_u32 s0, s28, -1
	s_addc_u32 s1, s29, -1
	s_add_u32 s2, 0, 0xaaaa0000
	s_addc_u32 s3, 0, 42
	s_mul_hi_u32 s8, s2, 0xffffffe8
	s_add_i32 s3, s3, 0xaaaaa80
	s_sub_i32 s8, s8, s2
	s_mul_i32 s16, s3, 0xffffffe8
	s_mul_i32 s7, s2, 0xffffffe8
	s_add_i32 s8, s8, s16
	s_mul_hi_u32 s9, s2, s7
	s_mul_i32 s18, s2, s8
	s_mul_hi_u32 s16, s2, s8
	s_mul_hi_u32 s17, s3, s7
	s_mul_i32 s7, s3, s7
	s_add_u32 s9, s9, s18
	s_addc_u32 s16, 0, s16
	s_mul_hi_u32 s19, s3, s8
	s_add_u32 s7, s9, s7
	s_mul_i32 s8, s3, s8
	s_addc_u32 s7, s16, s17
	s_addc_u32 s9, s19, 0
	s_add_u32 s7, s7, s8
	v_add_co_u32 v1, s2, s2, s7
	s_addc_u32 s7, 0, s9
	s_cmp_lg_u32 s2, 0
	s_addc_u32 s2, s3, s7
	v_readfirstlane_b32 s3, v1
	s_mul_i32 s8, s0, s2
	s_mul_hi_u32 s7, s0, s2
	s_mul_hi_u32 s9, s1, s2
	s_mul_i32 s2, s1, s2
	s_mul_hi_u32 s16, s0, s3
	s_mul_hi_u32 s17, s1, s3
	s_mul_i32 s3, s1, s3
	s_add_u32 s8, s16, s8
	s_addc_u32 s7, 0, s7
	s_add_u32 s3, s8, s3
	s_addc_u32 s3, s7, s17
	s_addc_u32 s7, s9, 0
	s_add_u32 s2, s3, s2
	s_addc_u32 s3, 0, s7
	s_mul_i32 s8, s2, 24
	s_add_u32 s7, s2, 1
	v_sub_co_u32 v1, s0, s0, s8
	s_mul_hi_u32 s8, s2, 24
	s_addc_u32 s9, s3, 0
	s_mul_i32 s16, s3, 24
	v_sub_co_u32 v2, s17, v1, 24
	s_add_u32 s18, s2, 2
	s_addc_u32 s19, s3, 0
	s_add_i32 s8, s8, s16
	s_cmp_lg_u32 s0, 0
	v_readfirstlane_b32 s0, v2
	s_subb_u32 s1, s1, s8
	s_cmp_lg_u32 s17, 0
	s_subb_u32 s8, s1, 0
	s_cmp_gt_u32 s0, 23
	s_cselect_b32 s0, -1, 0
	s_cmp_eq_u32 s8, 0
	v_readfirstlane_b32 s8, v1
	s_cselect_b32 s0, s0, -1
	s_cmp_lg_u32 s0, 0
	s_cselect_b32 s0, s18, s7
	s_cselect_b32 s9, s19, s9
	s_cmp_gt_u32 s8, 23
	s_cselect_b32 s7, -1, 0
	s_cmp_eq_u32 s1, 0
	s_cselect_b32 s1, s7, -1
	s_mov_b32 s7, 0
	s_cmp_lg_u32 s1, 0
	s_cselect_b32 s0, s0, s2
	s_cselect_b32 s1, s9, s3
	s_add_u32 s0, s0, 1
	s_addc_u32 s1, s1, 0
	s_mov_b64 s[8:9], 0
	v_cmp_lt_u64_e64 s2, s[6:7], s[0:1]
	s_and_b32 vcc_lo, exec_lo, s2
	s_cbranch_vccnz .LBB0_4
; %bb.3:
	v_cvt_f32_u32_e32 v1, s0
	s_sub_i32 s3, 0, s0
	v_rcp_iflag_f32_e32 v1, v1
	v_mul_f32_e32 v1, 0x4f7ffffe, v1
	v_cvt_u32_f32_e32 v1, v1
	v_readfirstlane_b32 s2, v1
	s_mul_i32 s3, s3, s2
	s_mul_hi_u32 s3, s2, s3
	s_add_i32 s2, s2, s3
	s_mul_hi_u32 s2, s6, s2
	s_mul_i32 s3, s2, s0
	s_add_i32 s8, s2, 1
	s_sub_i32 s3, s6, s3
	s_sub_i32 s9, s3, s0
	s_cmp_ge_u32 s3, s0
	s_cselect_b32 s2, s8, s2
	s_cselect_b32 s3, s9, s3
	s_add_i32 s8, s2, 1
	s_cmp_ge_u32 s3, s0
	s_mov_b32 s9, s7
	s_cselect_b32 s8, s8, s2
.LBB0_4:
	s_load_dwordx4 s[24:27], s[14:15], 0x0
	s_load_dwordx4 s[16:19], s[30:31], 0x0
	s_clause 0x1
	s_load_dwordx4 s[20:23], s[4:5], 0x60
	s_load_dwordx2 s[4:5], s[4:5], 0x0
	s_mul_i32 s2, s8, s1
	s_mul_hi_u32 s3, s8, s0
	s_mul_i32 s33, s8, s0
	s_add_i32 s3, s3, s2
	s_sub_u32 s46, s6, s33
	s_subb_u32 s2, 0, s3
	s_mul_hi_u32 s33, s46, 24
	s_mul_i32 s2, s2, 24
	v_cmp_lt_u64_e64 s34, s[10:11], 3
	s_add_i32 s33, s33, s2
	s_mul_i32 s46, s46, 24
	s_and_b32 vcc_lo, exec_lo, s34
	s_waitcnt lgkmcnt(0)
	s_mul_i32 s2, s26, s33
	s_mul_hi_u32 s3, s26, s46
	s_mul_i32 s36, s18, s33
	s_mul_hi_u32 s37, s18, s46
	s_mul_i32 s35, s27, s46
	s_mul_i32 s38, s19, s46
	s_add_i32 s2, s3, s2
	s_add_i32 s3, s37, s36
	s_mul_i32 s47, s26, s46
	s_add_i32 s48, s2, s35
	s_add_i32 s3, s3, s38
	s_mul_i32 s2, s18, s46
	s_cbranch_vccnz .LBB0_14
; %bb.5:
	s_add_u32 s34, s30, 16
	s_addc_u32 s35, s31, 0
	s_add_u32 s36, s14, 16
	s_addc_u32 s37, s15, 0
	;; [unrolled: 2-line block ×3, first 2 shown]
	s_mov_b64 s[38:39], 2
	s_mov_b32 s40, 0
.LBB0_6:                                ; =>This Inner Loop Header: Depth=1
	s_load_dwordx2 s[42:43], s[12:13], 0x0
	s_waitcnt lgkmcnt(0)
	s_or_b64 s[44:45], s[8:9], s[42:43]
	s_mov_b32 s41, s45
                                        ; implicit-def: $sgpr44_sgpr45
	s_cmp_lg_u64 s[40:41], 0
	s_mov_b32 s41, -1
	s_cbranch_scc0 .LBB0_8
; %bb.7:                                ;   in Loop: Header=BB0_6 Depth=1
	v_cvt_f32_u32_e32 v1, s42
	v_cvt_f32_u32_e32 v2, s43
	s_sub_u32 s45, 0, s42
	s_subb_u32 s49, 0, s43
	v_fmac_f32_e32 v1, 0x4f800000, v2
	v_rcp_f32_e32 v1, v1
	v_mul_f32_e32 v1, 0x5f7ffffc, v1
	v_mul_f32_e32 v2, 0x2f800000, v1
	v_trunc_f32_e32 v2, v2
	v_fmac_f32_e32 v1, 0xcf800000, v2
	v_cvt_u32_f32_e32 v2, v2
	v_cvt_u32_f32_e32 v1, v1
	v_readfirstlane_b32 s41, v2
	v_readfirstlane_b32 s44, v1
	s_mul_i32 s50, s45, s41
	s_mul_hi_u32 s52, s45, s44
	s_mul_i32 s51, s49, s44
	s_add_i32 s50, s52, s50
	s_mul_i32 s53, s45, s44
	s_add_i32 s50, s50, s51
	s_mul_hi_u32 s52, s44, s53
	s_mul_hi_u32 s54, s41, s53
	s_mul_i32 s51, s41, s53
	s_mul_hi_u32 s53, s44, s50
	s_mul_i32 s44, s44, s50
	s_mul_hi_u32 s55, s41, s50
	s_add_u32 s44, s52, s44
	s_addc_u32 s52, 0, s53
	s_add_u32 s44, s44, s51
	s_mul_i32 s50, s41, s50
	s_addc_u32 s44, s52, s54
	s_addc_u32 s51, s55, 0
	s_add_u32 s44, s44, s50
	s_addc_u32 s50, 0, s51
	v_add_co_u32 v1, s44, v1, s44
	s_cmp_lg_u32 s44, 0
	s_addc_u32 s41, s41, s50
	v_readfirstlane_b32 s44, v1
	s_mul_i32 s50, s45, s41
	s_mul_hi_u32 s51, s45, s44
	s_mul_i32 s49, s49, s44
	s_add_i32 s50, s51, s50
	s_mul_i32 s45, s45, s44
	s_add_i32 s50, s50, s49
	s_mul_hi_u32 s51, s41, s45
	s_mul_i32 s52, s41, s45
	s_mul_hi_u32 s45, s44, s45
	s_mul_hi_u32 s53, s44, s50
	s_mul_i32 s44, s44, s50
	s_mul_hi_u32 s49, s41, s50
	s_add_u32 s44, s45, s44
	s_addc_u32 s45, 0, s53
	s_add_u32 s44, s44, s52
	s_mul_i32 s50, s41, s50
	s_addc_u32 s44, s45, s51
	s_addc_u32 s45, s49, 0
	s_add_u32 s44, s44, s50
	s_addc_u32 s45, 0, s45
	v_add_co_u32 v1, s44, v1, s44
	s_cmp_lg_u32 s44, 0
	s_addc_u32 s41, s41, s45
	v_readfirstlane_b32 s44, v1
	s_mul_i32 s49, s8, s41
	s_mul_hi_u32 s45, s8, s41
	s_mul_hi_u32 s50, s9, s41
	s_mul_i32 s41, s9, s41
	s_mul_hi_u32 s51, s8, s44
	s_mul_hi_u32 s52, s9, s44
	s_mul_i32 s44, s9, s44
	s_add_u32 s49, s51, s49
	s_addc_u32 s45, 0, s45
	s_add_u32 s44, s49, s44
	s_addc_u32 s44, s45, s52
	s_addc_u32 s45, s50, 0
	s_add_u32 s44, s44, s41
	s_addc_u32 s45, 0, s45
	s_mul_hi_u32 s41, s42, s44
	s_mul_i32 s50, s42, s45
	s_mul_i32 s51, s42, s44
	s_add_i32 s41, s41, s50
	v_sub_co_u32 v1, s50, s8, s51
	s_mul_i32 s49, s43, s44
	s_add_i32 s41, s41, s49
	v_sub_co_u32 v2, s51, v1, s42
	s_sub_i32 s49, s9, s41
	s_cmp_lg_u32 s50, 0
	s_subb_u32 s49, s49, s43
	s_cmp_lg_u32 s51, 0
	v_readfirstlane_b32 s51, v2
	s_subb_u32 s49, s49, 0
	s_cmp_ge_u32 s49, s43
	s_cselect_b32 s52, -1, 0
	s_cmp_ge_u32 s51, s42
	s_cselect_b32 s51, -1, 0
	s_cmp_eq_u32 s49, s43
	s_cselect_b32 s49, s51, s52
	s_add_u32 s51, s44, 1
	s_addc_u32 s52, s45, 0
	s_add_u32 s53, s44, 2
	s_addc_u32 s54, s45, 0
	s_cmp_lg_u32 s49, 0
	s_cselect_b32 s49, s53, s51
	s_cselect_b32 s51, s54, s52
	s_cmp_lg_u32 s50, 0
	v_readfirstlane_b32 s50, v1
	s_subb_u32 s41, s9, s41
	s_cmp_ge_u32 s41, s43
	s_cselect_b32 s52, -1, 0
	s_cmp_ge_u32 s50, s42
	s_cselect_b32 s50, -1, 0
	s_cmp_eq_u32 s41, s43
	s_cselect_b32 s41, s50, s52
	s_cmp_lg_u32 s41, 0
	s_mov_b32 s41, 0
	s_cselect_b32 s45, s51, s45
	s_cselect_b32 s44, s49, s44
.LBB0_8:                                ;   in Loop: Header=BB0_6 Depth=1
	s_andn2_b32 vcc_lo, exec_lo, s41
	s_cbranch_vccnz .LBB0_10
; %bb.9:                                ;   in Loop: Header=BB0_6 Depth=1
	v_cvt_f32_u32_e32 v1, s42
	s_sub_i32 s44, 0, s42
	v_rcp_iflag_f32_e32 v1, v1
	v_mul_f32_e32 v1, 0x4f7ffffe, v1
	v_cvt_u32_f32_e32 v1, v1
	v_readfirstlane_b32 s41, v1
	s_mul_i32 s44, s44, s41
	s_mul_hi_u32 s44, s41, s44
	s_add_i32 s41, s41, s44
	s_mul_hi_u32 s41, s8, s41
	s_mul_i32 s44, s41, s42
	s_add_i32 s45, s41, 1
	s_sub_i32 s44, s8, s44
	s_sub_i32 s49, s44, s42
	s_cmp_ge_u32 s44, s42
	s_cselect_b32 s41, s45, s41
	s_cselect_b32 s44, s49, s44
	s_add_i32 s45, s41, 1
	s_cmp_ge_u32 s44, s42
	s_cselect_b32 s44, s45, s41
	s_mov_b32 s45, s40
.LBB0_10:                               ;   in Loop: Header=BB0_6 Depth=1
	s_load_dwordx2 s[50:51], s[36:37], 0x0
	s_load_dwordx2 s[52:53], s[34:35], 0x0
	s_mul_i32 s1, s42, s1
	s_mul_hi_u32 s41, s42, s0
	s_mul_i32 s49, s43, s0
	s_mul_i32 s43, s44, s43
	s_mul_hi_u32 s54, s44, s42
	s_mul_i32 s55, s45, s42
	s_add_i32 s1, s41, s1
	s_add_i32 s41, s54, s43
	s_mul_i32 s56, s44, s42
	s_add_i32 s1, s1, s49
	s_add_i32 s41, s41, s55
	s_sub_u32 s8, s8, s56
	s_subb_u32 s9, s9, s41
	s_mul_i32 s0, s42, s0
	s_waitcnt lgkmcnt(0)
	s_mul_i32 s41, s50, s9
	s_mul_hi_u32 s43, s50, s8
	s_mul_i32 s49, s51, s8
	s_add_i32 s41, s43, s41
	s_mul_i32 s50, s50, s8
	s_mul_i32 s9, s52, s9
	s_mul_hi_u32 s43, s52, s8
	s_add_i32 s41, s41, s49
	s_add_u32 s47, s50, s47
	s_addc_u32 s48, s41, s48
	s_add_i32 s9, s43, s9
	s_mul_i32 s41, s53, s8
	s_mul_i32 s8, s52, s8
	s_add_i32 s9, s9, s41
	s_add_u32 s2, s8, s2
	s_addc_u32 s3, s9, s3
	s_add_u32 s38, s38, 1
	s_addc_u32 s39, s39, 0
	s_add_u32 s34, s34, 8
	v_cmp_ge_u64_e64 s8, s[38:39], s[10:11]
	s_addc_u32 s35, s35, 0
	s_add_u32 s36, s36, 8
	s_addc_u32 s37, s37, 0
	s_add_u32 s12, s12, 8
	s_addc_u32 s13, s13, 0
	s_and_b32 vcc_lo, exec_lo, s8
	s_cbranch_vccnz .LBB0_12
; %bb.11:                               ;   in Loop: Header=BB0_6 Depth=1
	s_mov_b64 s[8:9], s[44:45]
	s_branch .LBB0_6
.LBB0_12:
	v_cmp_lt_u64_e64 s1, s[6:7], s[0:1]
	s_mov_b64 s[8:9], 0
	s_and_b32 vcc_lo, exec_lo, s1
	s_cbranch_vccnz .LBB0_14
; %bb.13:
	v_cvt_f32_u32_e32 v1, s0
	s_sub_i32 s7, 0, s0
	v_rcp_iflag_f32_e32 v1, v1
	v_mul_f32_e32 v1, 0x4f7ffffe, v1
	v_cvt_u32_f32_e32 v1, v1
	v_readfirstlane_b32 s1, v1
	s_mul_i32 s7, s7, s1
	s_mul_hi_u32 s7, s1, s7
	s_add_i32 s1, s1, s7
	s_mul_hi_u32 s1, s6, s1
	s_mul_i32 s7, s1, s0
	s_sub_i32 s6, s6, s7
	s_add_i32 s7, s1, 1
	s_sub_i32 s8, s6, s0
	s_cmp_ge_u32 s6, s0
	s_cselect_b32 s1, s7, s1
	s_cselect_b32 s6, s8, s6
	s_add_i32 s7, s1, 1
	s_cmp_ge_u32 s6, s0
	s_cselect_b32 s8, s7, s1
.LBB0_14:
	s_lshl_b64 s[6:7], s[10:11], 3
	v_mul_hi_u32 v18, 0xaaaaaab, v0
	s_add_u32 s0, s14, s6
	s_addc_u32 s1, s15, s7
                                        ; implicit-def: $vgpr2
                                        ; implicit-def: $vgpr4
                                        ; implicit-def: $vgpr6
                                        ; implicit-def: $vgpr8
                                        ; implicit-def: $vgpr16
                                        ; implicit-def: $vgpr14
                                        ; implicit-def: $vgpr12
	s_load_dwordx2 s[10:11], s[0:1], 0x0
	v_cmp_gt_u32_e64 s0, 0x120, v0
	v_mul_u32_u24_e32 v1, 24, v18
	v_add_nc_u32_e32 v22, 12, v18
	v_add_nc_u32_e32 v23, 24, v18
	v_add_nc_u32_e32 v24, 36, v18
	v_add_nc_u32_e32 v21, 48, v18
	v_sub_nc_u32_e32 v17, v0, v1
	v_add_nc_u32_e32 v20, 60, v18
	v_add_nc_u32_e32 v19, 0x48, v18
	s_waitcnt lgkmcnt(0)
	s_mul_i32 s1, s11, s8
	s_mul_hi_u32 s9, s10, s8
	s_mul_i32 s10, s10, s8
	s_add_i32 s9, s9, s1
	s_add_u32 s10, s10, s47
	s_addc_u32 s11, s9, s48
	s_add_u32 s6, s30, s6
	s_addc_u32 s7, s31, s7
	;; [unrolled: 2-line block ×3, first 2 shown]
	v_cmp_le_u64_e64 s9, s[12:13], s[28:29]
	s_and_b32 s12, s0, s9
	s_and_saveexec_b32 s1, s12
	s_cbranch_execz .LBB0_16
; %bb.15:
	v_mad_u64_u32 v[1:2], null, s26, v17, 0
	v_mad_u64_u32 v[3:4], null, s24, v18, 0
	;; [unrolled: 1-line block ×4, first 2 shown]
	s_lshl_b64 s[12:13], s[10:11], 3
	v_mad_u64_u32 v[9:10], null, s27, v17, v[2:3]
	v_mad_u64_u32 v[12:13], null, s25, v18, v[4:5]
	;; [unrolled: 1-line block ×3, first 2 shown]
	s_add_u32 s12, s20, s12
	v_mad_u64_u32 v[13:14], null, s24, v21, 0
	v_mov_b32_e32 v2, v9
	v_mov_b32_e32 v4, v12
	s_addc_u32 s13, s21, s13
	v_mad_u64_u32 v[10:11], null, s24, v24, 0
	v_lshlrev_b64 v[1:2], 3, v[1:2]
	v_lshlrev_b64 v[3:4], 3, v[3:4]
	v_mov_b32_e32 v6, v15
	v_mad_u64_u32 v[8:9], null, s25, v23, v[8:9]
	v_mad_u64_u32 v[15:16], null, s24, v20, 0
	v_add_co_u32 v30, vcc_lo, s12, v1
	v_add_co_ci_u32_e32 v31, vcc_lo, s13, v2, vcc_lo
	v_add_co_u32 v1, vcc_lo, v30, v3
	v_add_co_ci_u32_e32 v2, vcc_lo, v31, v4, vcc_lo
	v_lshlrev_b64 v[4:5], 3, v[5:6]
	v_mov_b32_e32 v6, v14
	v_mov_b32_e32 v3, v11
	v_mad_u64_u32 v[25:26], null, s25, v21, v[6:7]
	v_mad_u64_u32 v[26:27], null, s24, v19, 0
	;; [unrolled: 1-line block ×3, first 2 shown]
	v_add_co_u32 v3, vcc_lo, v30, v4
	v_lshlrev_b64 v[6:7], 3, v[7:8]
	v_add_co_ci_u32_e32 v4, vcc_lo, v31, v5, vcc_lo
	v_mov_b32_e32 v5, v16
	v_mov_b32_e32 v14, v25
	v_mad_u64_u32 v[8:9], null, s25, v20, v[5:6]
	v_mov_b32_e32 v5, v27
	v_add_co_u32 v6, vcc_lo, v30, v6
	v_lshlrev_b64 v[9:10], 3, v[10:11]
	v_add_co_ci_u32_e32 v7, vcc_lo, v31, v7, vcc_lo
	v_mad_u64_u32 v[11:12], null, s25, v19, v[5:6]
	v_mov_b32_e32 v16, v8
	v_lshlrev_b64 v[12:13], 3, v[13:14]
	v_add_co_u32 v8, vcc_lo, v30, v9
	v_add_co_ci_u32_e32 v9, vcc_lo, v31, v10, vcc_lo
	v_mov_b32_e32 v27, v11
	v_lshlrev_b64 v[14:15], 3, v[15:16]
	v_add_co_u32 v28, vcc_lo, v30, v12
	v_add_co_ci_u32_e32 v29, vcc_lo, v31, v13, vcc_lo
	v_lshlrev_b64 v[10:11], 3, v[26:27]
	v_add_co_u32 v13, vcc_lo, v30, v14
	v_add_co_ci_u32_e32 v14, vcc_lo, v31, v15, vcc_lo
	v_add_co_u32 v15, vcc_lo, v30, v10
	v_add_co_ci_u32_e32 v16, vcc_lo, v31, v11, vcc_lo
	s_clause 0x6
	global_load_dwordx2 v[1:2], v[1:2], off
	global_load_dwordx2 v[3:4], v[3:4], off
	global_load_dwordx2 v[5:6], v[6:7], off
	global_load_dwordx2 v[11:12], v[8:9], off
	global_load_dwordx2 v[7:8], v[28:29], off
	global_load_dwordx2 v[13:14], v[13:14], off
	global_load_dwordx2 v[15:16], v[15:16], off
.LBB0_16:
	s_or_b32 exec_lo, exec_lo, s1
	v_add_co_u32 v9, s1, s46, v17
	v_add_co_ci_u32_e64 v10, null, s33, 0, s1
	s_xor_b32 s1, s9, -1
	v_cmp_gt_u64_e32 vcc_lo, s[28:29], v[9:10]
	s_and_b32 s12, s0, vcc_lo
	s_and_b32 s1, s1, s12
	s_and_saveexec_b32 s12, s1
	s_cbranch_execz .LBB0_18
; %bb.17:
	s_waitcnt vmcnt(6)
	v_mad_u64_u32 v[1:2], null, s26, v17, 0
	s_waitcnt vmcnt(5)
	v_mad_u64_u32 v[3:4], null, s24, v18, 0
	;; [unrolled: 2-line block ×4, first 2 shown]
	s_lshl_b64 s[10:11], s[10:11], 3
	v_mad_u64_u32 v[10:11], null, s27, v17, v[2:3]
	s_waitcnt vmcnt(1)
	v_mad_u64_u32 v[13:14], null, s25, v18, v[4:5]
	v_mad_u64_u32 v[25:26], null, s25, v22, v[6:7]
	s_add_u32 s1, s20, s10
	v_mad_u64_u32 v[11:12], null, s24, v24, 0
	v_mov_b32_e32 v2, v10
	v_mov_b32_e32 v4, v13
	s_addc_u32 s10, s21, s11
	v_mad_u64_u32 v[22:23], null, s25, v23, v[8:9]
	v_lshlrev_b64 v[1:2], 3, v[1:2]
	v_lshlrev_b64 v[3:4], 3, v[3:4]
	s_waitcnt vmcnt(0)
	v_mad_u64_u32 v[14:15], null, s24, v21, 0
	v_mov_b32_e32 v6, v25
	v_add_co_u32 v26, s1, s1, v1
	v_add_co_ci_u32_e64 v27, s1, s10, v2, s1
	v_mov_b32_e32 v8, v22
	v_add_co_u32 v1, s1, v26, v3
	v_add_co_ci_u32_e64 v2, s1, v27, v4, s1
	v_lshlrev_b64 v[4:5], 3, v[5:6]
	v_mov_b32_e32 v3, v12
	v_mad_u64_u32 v[22:23], null, s24, v20, 0
	v_mov_b32_e32 v6, v15
	v_mad_u64_u32 v[12:13], null, s25, v24, v[3:4]
	v_mad_u64_u32 v[24:25], null, s24, v19, 0
	v_add_co_u32 v3, s1, v26, v4
	v_mad_u64_u32 v[15:16], null, s25, v21, v[6:7]
	v_lshlrev_b64 v[6:7], 3, v[7:8]
	v_add_co_ci_u32_e64 v4, s1, v27, v5, s1
	v_mov_b32_e32 v5, v23
	v_lshlrev_b64 v[10:11], 3, v[11:12]
	v_mad_u64_u32 v[20:21], null, s25, v20, v[5:6]
	v_mov_b32_e32 v5, v25
	v_add_co_u32 v6, s1, v26, v6
	v_add_co_ci_u32_e64 v7, s1, v27, v7, s1
	v_add_co_u32 v10, s1, v26, v10
	v_mad_u64_u32 v[12:13], null, s25, v19, v[5:6]
	v_mov_b32_e32 v23, v20
	v_lshlrev_b64 v[13:14], 3, v[14:15]
	v_add_co_ci_u32_e64 v11, s1, v27, v11, s1
	v_lshlrev_b64 v[15:16], 3, v[22:23]
	v_mov_b32_e32 v25, v12
	v_add_co_u32 v13, s1, v26, v13
	v_add_co_ci_u32_e64 v14, s1, v27, v14, s1
	v_lshlrev_b64 v[19:20], 3, v[24:25]
	v_add_co_u32 v15, s1, v26, v15
	v_add_co_ci_u32_e64 v16, s1, v27, v16, s1
	v_add_co_u32 v19, s1, v26, v19
	v_add_co_ci_u32_e64 v20, s1, v27, v20, s1
	s_clause 0x6
	global_load_dwordx2 v[1:2], v[1:2], off
	global_load_dwordx2 v[3:4], v[3:4], off
	;; [unrolled: 1-line block ×7, first 2 shown]
.LBB0_18:
	s_or_b32 exec_lo, exec_lo, s12
	v_lshlrev_b32_e32 v10, 3, v17
	s_and_saveexec_b32 s1, s0
	s_cbranch_execz .LBB0_20
; %bb.19:
	s_waitcnt vmcnt(1)
	v_sub_f32_e32 v20, v5, v13
	s_waitcnt vmcnt(0)
	v_sub_f32_e32 v21, v3, v15
	v_add_f32_e32 v3, v3, v15
	v_add_f32_e32 v5, v5, v13
	v_sub_f32_e32 v19, v7, v11
	v_add_f32_e32 v7, v7, v11
	v_add_f32_e32 v22, v4, v16
	;; [unrolled: 1-line block ×5, first 2 shown]
	v_sub_f32_e32 v29, v7, v5
	v_sub_f32_e32 v8, v8, v12
	v_add_f32_e32 v27, v22, v23
	v_add_f32_e32 v11, v11, v7
	v_sub_f32_e32 v6, v6, v14
	v_sub_f32_e32 v7, v3, v7
	v_mul_f32_e32 v12, 0x3d64c772, v29
	v_sub_f32_e32 v14, v4, v16
	v_add_f32_e32 v1, v1, v11
	v_sub_f32_e32 v24, v19, v20
	v_sub_f32_e32 v26, v21, v19
	v_add_f32_e32 v19, v20, v19
	v_sub_f32_e32 v15, v25, v23
	v_add_f32_e32 v27, v27, v25
	v_sub_f32_e32 v13, v22, v25
	v_sub_f32_e32 v4, v8, v6
	v_fmamk_f32 v16, v7, 0x3f4a47b2, v12
	v_fmamk_f32 v11, v11, 0xbf955555, v1
	v_sub_f32_e32 v29, v14, v8
	v_sub_f32_e32 v20, v20, v21
	v_add_f32_e32 v8, v6, v8
	v_sub_f32_e32 v6, v6, v14
	v_mul_f32_e32 v24, 0x3f08b237, v24
	v_add_f32_e32 v19, v21, v19
	v_mul_f32_e32 v15, 0x3d64c772, v15
	v_add_f32_e32 v2, v2, v27
	v_mul_f32_e32 v25, 0x3f4a47b2, v13
	v_mul_f32_e32 v30, 0x3f08b237, v4
	v_add_f32_e32 v21, v16, v11
	v_mul_f32_e32 v16, 0xbf5ff5aa, v20
	v_sub_f32_e32 v22, v23, v22
	v_sub_f32_e32 v3, v5, v3
	v_add_f32_e32 v5, v14, v8
	v_mul_f32_e32 v8, 0xbf5ff5aa, v6
	v_mul_f32_e32 v7, 0x3f4a47b2, v7
	v_fmamk_f32 v28, v26, 0xbeae86e6, v24
	v_fmamk_f32 v13, v13, 0x3f4a47b2, v15
	;; [unrolled: 1-line block ×4, first 2 shown]
	v_fma_f32 v14, 0x3eae86e6, v26, -v16
	v_fma_f32 v16, 0xbf3bfb3b, v22, -v25
	;; [unrolled: 1-line block ×8, first 2 shown]
	v_fmac_f32_e32 v28, 0xbee1c552, v19
	v_add_f32_e32 v13, v13, v27
	v_fmac_f32_e32 v31, 0xbee1c552, v5
	v_fmac_f32_e32 v14, 0xbee1c552, v19
	v_add_f32_e32 v16, v16, v27
	v_add_f32_e32 v12, v8, v27
	v_fmac_f32_e32 v15, 0xbee1c552, v19
	v_mul_u32_u24_e32 v19, 0x540, v18
	v_add_f32_e32 v7, v7, v11
	v_fmac_f32_e32 v23, 0xbee1c552, v5
	v_fmac_f32_e32 v20, 0xbee1c552, v5
	v_add_f32_e32 v3, v3, v11
	v_add_f32_e32 v6, v16, v14
	v_sub_f32_e32 v8, v12, v15
	v_add_f32_e32 v12, v12, v15
	v_sub_f32_e32 v14, v16, v14
	v_sub_f32_e32 v16, v13, v28
	v_add_f32_e32 v15, v31, v21
	v_add3_u32 v19, 0, v19, v10
	v_add_f32_e32 v4, v13, v28
	v_sub_f32_e32 v11, v3, v20
	v_add_f32_e32 v13, v23, v7
	v_sub_f32_e32 v5, v7, v23
	;; [unrolled: 2-line block ×3, first 2 shown]
	ds_write2_b64 v19, v[1:2], v[15:16] offset1:24
	ds_write2_b64 v19, v[13:14], v[11:12] offset0:48 offset1:72
	ds_write2_b64 v19, v[7:8], v[5:6] offset0:96 offset1:120
	ds_write_b64 v19, v[3:4] offset:1152
.LBB0_20:
	s_or_b32 exec_lo, exec_lo, s1
	s_waitcnt vmcnt(6)
	v_add_nc_u32_e32 v1, 14, v18
	s_waitcnt vmcnt(5)
	v_add_nc_u32_e32 v3, 28, v18
	v_mul_hi_u32 v2, 0x24924925, v18
	s_load_dwordx2 s[6:7], s[6:7], 0x0
	s_waitcnt vmcnt(0) lgkmcnt(0)
	v_mul_hi_u32 v27, 0x24924925, v1
	v_mul_hi_u32 v28, 0x24924925, v3
	s_barrier
	buffer_gl0_inv
	v_mul_u32_u24_e32 v4, 7, v2
	v_mov_b32_e32 v2, 0
	v_mul_u32_u24_e32 v5, 7, v27
	v_mul_u32_u24_e32 v6, 7, v28
	v_sub_nc_u32_e32 v25, v18, v4
	v_mov_b32_e32 v4, v2
	v_sub_nc_u32_e32 v1, v1, v5
	v_sub_nc_u32_e32 v3, v3, v6
	v_lshlrev_b32_e32 v7, 3, v25
	v_lshlrev_b64 v[5:6], 3, v[1:2]
	v_lshlrev_b64 v[11:12], 3, v[3:4]
	global_load_dwordx2 v[7:8], v7, s[4:5]
	v_mul_u32_u24_e32 v2, 0xc0, v18
	v_mad_u32_u24 v3, v28, 14, v3
	v_add_co_u32 v4, s0, s4, v5
	v_add_co_ci_u32_e64 v5, s0, s5, v6, s0
	v_add_co_u32 v11, s0, s4, v11
	v_add_co_ci_u32_e64 v12, s0, s5, v12, s0
	v_mad_u32_u24 v6, v27, 14, v1
	s_clause 0x1
	global_load_dwordx2 v[4:5], v[4:5], off
	global_load_dwordx2 v[13:14], v[11:12], off
	v_add3_u32 v12, 0, v2, v10
	v_mul_hi_u32 v2, 0x1861862, v0
	v_mul_i32_i24_e32 v3, 0xc0, v3
	v_mul_i32_i24_e32 v6, 0xc0, v6
	s_or_b32 s0, s9, vcc_lo
	ds_read_b64 v[15:16], v12 offset:8064
	ds_read_b64 v[19:20], v12
	ds_read_b64 v[21:22], v12 offset:10752
	ds_read_b64 v[23:24], v12 offset:13440
	v_add3_u32 v30, 0, v3, v10
	v_add3_u32 v29, 0, v6, v10
	v_mad_u32_u24 v2, v2, 14, v25
	ds_read_b64 v[25:26], v12 offset:2688
	v_mul_i32_i24_e32 v11, 0xc0, v2
	ds_read_b64 v[1:2], v12 offset:5376
	s_waitcnt vmcnt(0) lgkmcnt(0)
	s_barrier
	buffer_gl0_inv
	v_add3_u32 v28, 0, v11, v10
	v_mul_f32_e32 v27, v8, v16
	v_mul_f32_e32 v8, v8, v15
	v_fmac_f32_e32 v27, v7, v15
	v_fma_f32 v3, v7, v16, -v8
	v_sub_f32_e32 v6, v19, v27
	v_sub_f32_e32 v7, v20, v3
	v_mul_f32_e32 v8, v5, v22
	v_mul_f32_e32 v5, v5, v21
	;; [unrolled: 1-line block ×4, first 2 shown]
	v_fma_f32 v3, v19, 2.0, -v6
	v_fmac_f32_e32 v8, v4, v21
	v_fma_f32 v4, v4, v22, -v5
	v_fmac_f32_e32 v15, v13, v23
	v_fma_f32 v5, v13, v24, -v10
	v_sub_f32_e32 v10, v25, v8
	v_sub_f32_e32 v11, v26, v4
	v_sub_f32_e32 v13, v1, v15
	v_sub_f32_e32 v14, v2, v5
	v_fma_f32 v4, v20, 2.0, -v7
	v_fma_f32 v15, v25, 2.0, -v10
	;; [unrolled: 1-line block ×5, first 2 shown]
	ds_write2_b64 v28, v[3:4], v[6:7] offset1:168
	ds_write2_b64 v29, v[15:16], v[10:11] offset1:168
	;; [unrolled: 1-line block ×3, first 2 shown]
	s_waitcnt lgkmcnt(0)
	s_barrier
	buffer_gl0_inv
	s_and_saveexec_b32 s1, s0
	s_cbranch_execz .LBB0_22
; %bb.21:
	v_mul_hi_u32 v1, 0x12492493, v18
	v_mad_u64_u32 v[13:14], null, s18, v17, 0
	v_mul_hi_u32_u24_e32 v0, 0xc30c31, v0
	s_mul_i32 s0, s7, s8
	s_mul_hi_u32 s1, s6, s8
	v_mul_lo_u32 v38, v9, -14
	v_add_nc_u32_e32 v51, 0x1500, v12
	v_mul_u32_u24_e32 v1, 14, v1
	v_add_nc_u32_e32 v50, 0xa80, v12
	v_sub_nc_u32_e32 v19, v18, v1
	v_mul_u32_u24_e32 v1, 5, v19
	v_mad_u32_u24 v29, 0x54, v0, v19
	v_mul_lo_u32 v0, v19, v9
	v_lshlrev_b32_e32 v10, 3, v1
	v_add_nc_u32_e32 v34, 42, v29
	v_add_nc_u32_e32 v36, 56, v29
	;; [unrolled: 1-line block ×4, first 2 shown]
	s_clause 0x2
	global_load_dwordx4 v[1:4], v10, s[4:5] offset:56
	global_load_dwordx4 v[5:8], v10, s[4:5] offset:72
	global_load_dwordx2 v[10:11], v10, s[4:5] offset:88
	ds_read_b64 v[15:16], v12
	s_mul_i32 s4, s6, s8
	s_add_i32 s5, s1, s0
	v_lshrrev_b32_e32 v32, 9, v0
	v_and_b32_e32 v33, 63, v0
	v_lshrrev_b32_e32 v0, 3, v0
	s_lshl_b64 s[4:5], s[4:5], 3
	v_add_nc_u32_e32 v31, 28, v29
	s_add_i32 s0, 0, 0x3f00
	s_add_u32 s1, s22, s4
	v_mad_u64_u32 v[23:24], null, s16, v34, 0
	s_addc_u32 s4, s23, s5
	s_lshl_b64 s[2:3], s[2:3], 3
	v_mad_u64_u32 v[25:26], null, s16, v36, 0
	v_mad_u64_u32 v[27:28], null, s16, v37, 0
	v_and_b32_e32 v41, 0x1f8, v0
	s_add_u32 s1, s1, s2
	s_waitcnt lgkmcnt(0)
	v_mad_u64_u32 v[17:18], null, s19, v17, v[14:15]
	v_add_nc_u32_e32 v18, 0x46, v19
	v_mad_u64_u32 v[19:20], null, s16, v30, 0
	v_mad_u64_u32 v[21:22], null, s16, v31, 0
	v_mul_lo_u32 v9, v18, v9
	v_mov_b32_e32 v14, v17
	v_mad_u64_u32 v[17:18], null, s16, v29, 0
	s_addc_u32 s2, s4, s3
	v_and_b32_e32 v32, 0x1f8, v32
	v_lshlrev_b64 v[13:14], 3, v[13:14]
	v_lshl_add_u32 v33, v33, 3, 0
	v_lshrrev_b32_e32 v35, 9, v9
	v_and_b32_e32 v39, 63, v9
	v_mov_b32_e32 v0, v18
	v_lshrrev_b32_e32 v40, 3, v9
	v_add_co_u32 v48, vcc_lo, s1, v13
	v_add_nc_u32_e32 v9, v9, v38
	v_add_co_ci_u32_e32 v49, vcc_lo, s2, v14, vcc_lo
	v_and_b32_e32 v35, 0x1f8, v35
	v_mov_b32_e32 v18, v26
	v_lshrrev_b32_e32 v42, 9, v9
	v_and_b32_e32 v43, 63, v9
	v_lshrrev_b32_e32 v44, 3, v9
	v_add_nc_u32_e32 v45, v9, v38
	v_mov_b32_e32 v9, v22
	v_add_nc_u32_e32 v52, s0, v32
	v_add_nc_u32_e32 v32, s0, v41
	;; [unrolled: 1-line block ×3, first 2 shown]
	v_and_b32_e32 v40, 0x1f8, v40
	v_and_b32_e32 v22, 0x1f8, v42
	v_lshl_add_u32 v42, v43, 3, 0
	v_lshrrev_b32_e32 v26, 9, v45
	v_and_b32_e32 v43, 63, v45
	v_lshl_add_u32 v39, v39, 3, 0
	v_add_nc_u32_e32 v40, s0, v40
	v_and_b32_e32 v46, 0x1f8, v26
	v_lshl_add_u32 v47, v43, 3, 0
	s_waitcnt vmcnt(2)
	v_mad_u64_u32 v[13:14], null, s17, v29, v[0:1]
	v_mov_b32_e32 v14, v24
	v_mov_b32_e32 v0, v20
	v_mov_b32_e32 v20, v28
	v_and_b32_e32 v24, 0x1f8, v44
	v_lshrrev_b32_e32 v44, 3, v45
	v_mad_u64_u32 v[34:35], null, s17, v34, v[14:15]
	v_mad_u64_u32 v[35:36], null, s17, v36, v[18:19]
	;; [unrolled: 1-line block ×4, first 2 shown]
	s_waitcnt vmcnt(0)
	v_mad_u64_u32 v[29:30], null, s17, v31, v[9:10]
	ds_read_b64 v[30:31], v33 offset:16128
	ds_read_b64 v[32:33], v32 offset:512
	v_add_nc_u32_e32 v45, v45, v38
	v_mov_b32_e32 v18, v13
	v_add_nc_u32_e32 v0, s0, v22
	v_add_nc_u32_e32 v9, s0, v24
	v_and_b32_e32 v43, 0x1f8, v44
	v_lshrrev_b32_e32 v44, 9, v45
	v_and_b32_e32 v53, 63, v45
	v_lshrrev_b32_e32 v54, 3, v45
	v_add_nc_u32_e32 v45, v45, v38
	v_lshlrev_b64 v[13:14], 3, v[17:18]
	v_mov_b32_e32 v20, v28
	v_mov_b32_e32 v24, v34
	;; [unrolled: 1-line block ×4, first 2 shown]
	ds_read_b64 v[17:18], v41 offset:1024
	ds_read_b64 v[34:35], v39 offset:16128
	;; [unrolled: 1-line block ×4, first 2 shown]
	v_and_b32_e32 v55, 0x1f8, v44
	v_add_nc_u32_e32 v0, s0, v46
	v_mov_b32_e32 v22, v29
	v_add_nc_u32_e32 v29, s0, v43
	v_and_b32_e32 v54, 0x1f8, v54
	v_lshrrev_b32_e32 v56, 9, v45
	v_and_b32_e32 v57, 63, v45
	v_lshrrev_b32_e32 v58, 3, v45
	ds_read_b64 v[40:41], v42 offset:16128
	ds_read_b64 v[42:43], v9 offset:512
	;; [unrolled: 1-line block ×4, first 2 shown]
	v_add_nc_u32_e32 v0, s0, v55
	s_waitcnt lgkmcnt(8)
	v_mul_f32_e32 v55, v31, v33
	v_lshlrev_b64 v[19:20], 3, v[19:20]
	v_add_nc_u32_e32 v9, s0, v54
	v_and_b32_e32 v54, 0x1f8, v56
	v_mul_f32_e32 v56, v30, v33
	v_fma_f32 v55, v30, v32, -v55
	ds_read_b64 v[29:30], v29 offset:512
	v_lshl_add_u32 v53, v53, 3, 0
	s_waitcnt lgkmcnt(6)
	v_mul_f32_e32 v33, v35, v37
	v_mul_f32_e32 v59, v34, v37
	v_lshlrev_b64 v[21:22], 3, v[21:22]
	v_add_co_u32 v13, vcc_lo, v48, v13
	v_add_co_ci_u32_e32 v14, vcc_lo, v49, v14, vcc_lo
	v_lshlrev_b64 v[23:24], 3, v[23:24]
	v_add_co_u32 v19, vcc_lo, v48, v19
	v_fmac_f32_e32 v56, v31, v32
	v_fma_f32 v60, v34, v36, -v33
	v_fmac_f32_e32 v59, v35, v36
	ds_read_b64 v[31:32], v0 offset:1024
	ds_read_b64 v[33:34], v53 offset:16128
	;; [unrolled: 1-line block ×3, first 2 shown]
	v_add_co_ci_u32_e32 v20, vcc_lo, v49, v20, vcc_lo
	v_lshlrev_b64 v[25:26], 3, v[25:26]
	v_add_co_u32 v21, vcc_lo, v48, v21
	v_add_co_ci_u32_e32 v22, vcc_lo, v49, v22, vcc_lo
	v_lshlrev_b64 v[27:28], 3, v[27:28]
	v_add_co_u32 v23, vcc_lo, v48, v23
	v_and_b32_e32 v58, 0x1f8, v58
	v_add_co_ci_u32_e32 v24, vcc_lo, v49, v24, vcc_lo
	v_add_co_u32 v25, vcc_lo, v48, v25
	s_waitcnt lgkmcnt(6)
	v_mul_f32_e32 v0, v41, v43
	v_mul_f32_e32 v9, v40, v43
	v_add_nc_u32_e32 v37, s0, v54
	v_lshl_add_u32 v57, v57, 3, 0
	v_add_co_ci_u32_e32 v26, vcc_lo, v49, v26, vcc_lo
	v_add_co_u32 v27, vcc_lo, v48, v27
	v_add_nc_u32_e32 v48, s0, v58
	v_add_co_ci_u32_e32 v28, vcc_lo, v49, v28, vcc_lo
	v_fma_f32 v0, v40, v42, -v0
	v_fmac_f32_e32 v9, v41, v42
	s_waitcnt lgkmcnt(3)
	v_mul_f32_e32 v53, v47, v30
	v_mul_f32_e32 v54, v46, v30
	ds_read_b64 v[40:41], v37 offset:1024
	ds_read_b64 v[42:43], v57 offset:16128
	;; [unrolled: 1-line block ×3, first 2 shown]
	s_waitcnt lgkmcnt(3)
	v_mul_f32_e32 v57, v33, v36
	v_fma_f32 v53, v46, v29, -v53
	v_fmac_f32_e32 v54, v47, v29
	v_mul_f32_e32 v46, v34, v36
	ds_read_b64 v[29:30], v12 offset:13440
	ds_read_b64 v[36:37], v52 offset:1024
	v_mul_f32_e32 v52, v59, v18
	v_fmac_f32_e32 v57, v34, v35
	v_fma_f32 v58, v33, v35, -v46
	v_mul_f32_e32 v35, v60, v18
	ds_read_b64 v[33:34], v12 offset:10752
	ds_read_b64 v[46:47], v12 offset:8064
	v_fma_f32 v12, v17, v60, -v52
	v_mul_f32_e32 v52, v9, v39
	v_mul_f32_e32 v39, v0, v39
	v_fmac_f32_e32 v35, v17, v59
	ds_read_b64 v[17:18], v51
	ds_read_b64 v[50:51], v50
	v_fma_f32 v52, v38, v0, -v52
	v_mul_f32_e32 v0, v54, v45
	v_fmac_f32_e32 v39, v38, v9
	v_mul_f32_e32 v9, v53, v45
	s_waitcnt lgkmcnt(6)
	v_mul_f32_e32 v38, v43, v49
	v_mul_f32_e32 v45, v42, v49
	v_fma_f32 v49, v44, v53, -v0
	s_waitcnt lgkmcnt(4)
	v_mul_f32_e32 v0, v56, v37
	v_mul_f32_e32 v37, v55, v37
	v_fma_f32 v38, v42, v48, -v38
	v_fmac_f32_e32 v45, v43, v48
	v_mul_f32_e32 v42, v57, v32
	v_mul_f32_e32 v32, v58, v32
	v_fma_f32 v43, v36, v55, -v0
	v_fmac_f32_e32 v37, v36, v56
	;; [unrolled: 4-line block ×3, first 2 shown]
	v_mul_f32_e32 v42, v11, v29
	v_fma_f32 v31, v40, v38, -v0
	v_fmac_f32_e32 v41, v40, v45
	s_waitcnt lgkmcnt(1)
	v_mul_f32_e32 v0, v4, v17
	v_mul_f32_e32 v38, v8, v33
	;; [unrolled: 1-line block ×5, first 2 shown]
	v_fmac_f32_e32 v9, v44, v54
	s_waitcnt lgkmcnt(0)
	v_mul_f32_e32 v44, v2, v51
	v_mul_f32_e32 v6, v6, v47
	;; [unrolled: 1-line block ×4, first 2 shown]
	v_fma_f32 v0, v3, v18, -v0
	v_fma_f32 v18, v7, v34, -v38
	v_fmac_f32_e32 v4, v3, v17
	v_fmac_f32_e32 v8, v7, v33
	v_fma_f32 v3, v5, v47, -v40
	v_fma_f32 v7, v10, v30, -v42
	v_fmac_f32_e32 v44, v1, v50
	v_fmac_f32_e32 v6, v5, v46
	;; [unrolled: 1-line block ×3, first 2 shown]
	v_fma_f32 v1, v1, v51, -v2
	v_add_f32_e32 v29, v3, v7
	v_add_f32_e32 v2, v0, v18
	v_sub_f32_e32 v5, v4, v8
	v_sub_f32_e32 v10, v3, v7
	v_add_f32_e32 v17, v6, v11
	v_sub_f32_e32 v30, v6, v11
	v_sub_f32_e32 v33, v0, v18
	v_add_f32_e32 v34, v4, v8
	v_add_f32_e32 v0, v16, v0
	;; [unrolled: 1-line block ×5, first 2 shown]
	v_fma_f32 v1, -0.5, v29, v1
	v_fma_f32 v16, -0.5, v2, v16
	;; [unrolled: 1-line block ×4, first 2 shown]
	v_add_f32_e32 v0, v0, v18
	v_add_f32_e32 v2, v3, v7
	;; [unrolled: 1-line block ×4, first 2 shown]
	v_fmamk_f32 v8, v30, 0xbf5db3d7, v1
	v_fmac_f32_e32 v1, 0x3f5db3d7, v30
	v_fmamk_f32 v6, v5, 0xbf5db3d7, v16
	v_fmamk_f32 v7, v10, 0x3f5db3d7, v17
	;; [unrolled: 1-line block ×3, first 2 shown]
	v_fmac_f32_e32 v16, 0x3f5db3d7, v5
	v_fmac_f32_e32 v17, 0xbf5db3d7, v10
	;; [unrolled: 1-line block ×3, first 2 shown]
	v_sub_f32_e32 v5, v0, v2
	v_sub_f32_e32 v10, v3, v4
	v_add_f32_e32 v18, v0, v2
	v_add_f32_e32 v4, v3, v4
	v_mul_f32_e32 v29, -0.5, v8
	v_mul_f32_e32 v8, 0xbf5db3d7, v8
	v_mul_f32_e32 v30, 0.5, v1
	v_mul_f32_e32 v33, 0xbf5db3d7, v1
	v_mul_f32_e32 v0, v5, v9
	;; [unrolled: 1-line block ×4, first 2 shown]
	v_fmac_f32_e32 v8, -0.5, v7
	v_fmac_f32_e32 v30, 0x3f5db3d7, v17
	v_fmac_f32_e32 v33, 0.5, v17
	v_fmac_f32_e32 v29, 0x3f5db3d7, v7
	v_mul_f32_e32 v1, v10, v9
	v_fmac_f32_e32 v0, v10, v49
	v_fma_f32 v3, v18, v43, -v3
	v_fmac_f32_e32 v2, v4, v43
	v_sub_f32_e32 v10, v11, v8
	v_sub_f32_e32 v17, v16, v30
	;; [unrolled: 1-line block ×3, first 2 shown]
	v_add_f32_e32 v11, v11, v8
	v_add_f32_e32 v16, v16, v30
	;; [unrolled: 1-line block ×4, first 2 shown]
	v_fma_f32 v1, v5, v49, -v1
	v_sub_f32_e32 v5, v6, v29
	global_store_dwordx2 v[13:14], v[2:3], off
	v_mul_f32_e32 v9, v11, v32
	v_mul_f32_e32 v14, v15, v41
	;; [unrolled: 1-line block ×8, first 2 shown]
	v_fma_f32 v9, v7, v36, -v9
	v_fma_f32 v7, v16, v31, -v14
	v_fmac_f32_e32 v6, v15, v31
	v_fmac_f32_e32 v8, v11, v36
	v_fma_f32 v3, v5, v12, -v3
	v_fma_f32 v5, v17, v52, -v13
	v_fmac_f32_e32 v4, v18, v52
	v_fmac_f32_e32 v2, v10, v12
	global_store_dwordx2 v[19:20], v[6:7], off
	global_store_dwordx2 v[21:22], v[8:9], off
	;; [unrolled: 1-line block ×5, first 2 shown]
.LBB0_22:
	s_endpgm
	.section	.rodata,"a",@progbits
	.p2align	6, 0x0
	.amdhsa_kernel fft_rtc_back_len84_factors_7_2_6_wgs_336_tpt_14_sp_op_CI_CI_sbcc_twdbase6_3step_dirReg
		.amdhsa_group_segment_fixed_size 0
		.amdhsa_private_segment_fixed_size 0
		.amdhsa_kernarg_size 112
		.amdhsa_user_sgpr_count 6
		.amdhsa_user_sgpr_private_segment_buffer 1
		.amdhsa_user_sgpr_dispatch_ptr 0
		.amdhsa_user_sgpr_queue_ptr 0
		.amdhsa_user_sgpr_kernarg_segment_ptr 1
		.amdhsa_user_sgpr_dispatch_id 0
		.amdhsa_user_sgpr_flat_scratch_init 0
		.amdhsa_user_sgpr_private_segment_size 0
		.amdhsa_wavefront_size32 1
		.amdhsa_uses_dynamic_stack 0
		.amdhsa_system_sgpr_private_segment_wavefront_offset 0
		.amdhsa_system_sgpr_workgroup_id_x 1
		.amdhsa_system_sgpr_workgroup_id_y 0
		.amdhsa_system_sgpr_workgroup_id_z 0
		.amdhsa_system_sgpr_workgroup_info 0
		.amdhsa_system_vgpr_workitem_id 0
		.amdhsa_next_free_vgpr 61
		.amdhsa_next_free_sgpr 57
		.amdhsa_reserve_vcc 1
		.amdhsa_reserve_flat_scratch 0
		.amdhsa_float_round_mode_32 0
		.amdhsa_float_round_mode_16_64 0
		.amdhsa_float_denorm_mode_32 3
		.amdhsa_float_denorm_mode_16_64 3
		.amdhsa_dx10_clamp 1
		.amdhsa_ieee_mode 1
		.amdhsa_fp16_overflow 0
		.amdhsa_workgroup_processor_mode 1
		.amdhsa_memory_ordered 1
		.amdhsa_forward_progress 0
		.amdhsa_shared_vgpr_count 0
		.amdhsa_exception_fp_ieee_invalid_op 0
		.amdhsa_exception_fp_denorm_src 0
		.amdhsa_exception_fp_ieee_div_zero 0
		.amdhsa_exception_fp_ieee_overflow 0
		.amdhsa_exception_fp_ieee_underflow 0
		.amdhsa_exception_fp_ieee_inexact 0
		.amdhsa_exception_int_div_zero 0
	.end_amdhsa_kernel
	.text
.Lfunc_end0:
	.size	fft_rtc_back_len84_factors_7_2_6_wgs_336_tpt_14_sp_op_CI_CI_sbcc_twdbase6_3step_dirReg, .Lfunc_end0-fft_rtc_back_len84_factors_7_2_6_wgs_336_tpt_14_sp_op_CI_CI_sbcc_twdbase6_3step_dirReg
                                        ; -- End function
	.section	.AMDGPU.csdata,"",@progbits
; Kernel info:
; codeLenInByte = 5536
; NumSgprs: 59
; NumVgprs: 61
; ScratchSize: 0
; MemoryBound: 0
; FloatMode: 240
; IeeeMode: 1
; LDSByteSize: 0 bytes/workgroup (compile time only)
; SGPRBlocks: 7
; VGPRBlocks: 7
; NumSGPRsForWavesPerEU: 59
; NumVGPRsForWavesPerEU: 61
; Occupancy: 14
; WaveLimiterHint : 1
; COMPUTE_PGM_RSRC2:SCRATCH_EN: 0
; COMPUTE_PGM_RSRC2:USER_SGPR: 6
; COMPUTE_PGM_RSRC2:TRAP_HANDLER: 0
; COMPUTE_PGM_RSRC2:TGID_X_EN: 1
; COMPUTE_PGM_RSRC2:TGID_Y_EN: 0
; COMPUTE_PGM_RSRC2:TGID_Z_EN: 0
; COMPUTE_PGM_RSRC2:TIDIG_COMP_CNT: 0
	.text
	.p2alignl 6, 3214868480
	.fill 48, 4, 3214868480
	.type	__hip_cuid_30c3af0d54b3248f,@object ; @__hip_cuid_30c3af0d54b3248f
	.section	.bss,"aw",@nobits
	.globl	__hip_cuid_30c3af0d54b3248f
__hip_cuid_30c3af0d54b3248f:
	.byte	0                               ; 0x0
	.size	__hip_cuid_30c3af0d54b3248f, 1

	.ident	"AMD clang version 19.0.0git (https://github.com/RadeonOpenCompute/llvm-project roc-6.4.0 25133 c7fe45cf4b819c5991fe208aaa96edf142730f1d)"
	.section	".note.GNU-stack","",@progbits
	.addrsig
	.addrsig_sym __hip_cuid_30c3af0d54b3248f
	.amdgpu_metadata
---
amdhsa.kernels:
  - .args:
      - .actual_access:  read_only
        .address_space:  global
        .offset:         0
        .size:           8
        .value_kind:     global_buffer
      - .address_space:  global
        .offset:         8
        .size:           8
        .value_kind:     global_buffer
      - .offset:         16
        .size:           8
        .value_kind:     by_value
      - .actual_access:  read_only
        .address_space:  global
        .offset:         24
        .size:           8
        .value_kind:     global_buffer
      - .actual_access:  read_only
        .address_space:  global
        .offset:         32
        .size:           8
        .value_kind:     global_buffer
      - .actual_access:  read_only
        .address_space:  global
        .offset:         40
        .size:           8
        .value_kind:     global_buffer
      - .offset:         48
        .size:           8
        .value_kind:     by_value
      - .actual_access:  read_only
        .address_space:  global
        .offset:         56
        .size:           8
        .value_kind:     global_buffer
      - .actual_access:  read_only
        .address_space:  global
        .offset:         64
        .size:           8
        .value_kind:     global_buffer
      - .offset:         72
        .size:           4
        .value_kind:     by_value
      - .actual_access:  read_only
        .address_space:  global
        .offset:         80
        .size:           8
        .value_kind:     global_buffer
      - .actual_access:  read_only
        .address_space:  global
        .offset:         88
        .size:           8
        .value_kind:     global_buffer
      - .actual_access:  read_only
        .address_space:  global
        .offset:         96
        .size:           8
        .value_kind:     global_buffer
      - .actual_access:  write_only
        .address_space:  global
        .offset:         104
        .size:           8
        .value_kind:     global_buffer
    .group_segment_fixed_size: 0
    .kernarg_segment_align: 8
    .kernarg_segment_size: 112
    .language:       OpenCL C
    .language_version:
      - 2
      - 0
    .max_flat_workgroup_size: 336
    .name:           fft_rtc_back_len84_factors_7_2_6_wgs_336_tpt_14_sp_op_CI_CI_sbcc_twdbase6_3step_dirReg
    .private_segment_fixed_size: 0
    .sgpr_count:     59
    .sgpr_spill_count: 0
    .symbol:         fft_rtc_back_len84_factors_7_2_6_wgs_336_tpt_14_sp_op_CI_CI_sbcc_twdbase6_3step_dirReg.kd
    .uniform_work_group_size: 1
    .uses_dynamic_stack: false
    .vgpr_count:     61
    .vgpr_spill_count: 0
    .wavefront_size: 32
    .workgroup_processor_mode: 1
amdhsa.target:   amdgcn-amd-amdhsa--gfx1030
amdhsa.version:
  - 1
  - 2
...

	.end_amdgpu_metadata
